;; amdgpu-corpus repo=ROCm/rocFFT kind=compiled arch=gfx1201 opt=O3
	.text
	.amdgcn_target "amdgcn-amd-amdhsa--gfx1201"
	.amdhsa_code_object_version 6
	.protected	bluestein_single_fwd_len245_dim1_dp_op_CI_CI ; -- Begin function bluestein_single_fwd_len245_dim1_dp_op_CI_CI
	.globl	bluestein_single_fwd_len245_dim1_dp_op_CI_CI
	.p2align	8
	.type	bluestein_single_fwd_len245_dim1_dp_op_CI_CI,@function
bluestein_single_fwd_len245_dim1_dp_op_CI_CI: ; @bluestein_single_fwd_len245_dim1_dp_op_CI_CI
; %bb.0:
	s_load_b128 s[16:19], s[0:1], 0x28
	v_mul_u32_u24_e32 v1, 0x751, v0
	s_mov_b32 s2, exec_lo
	s_delay_alu instid0(VALU_DEP_1) | instskip(NEXT) | instid1(VALU_DEP_1)
	v_lshrrev_b32_e32 v1, 16, v1
	v_mad_co_u64_u32 v[124:125], null, ttmp9, 7, v[1:2]
	v_mov_b32_e32 v125, 0
	s_wait_kmcnt 0x0
	s_delay_alu instid0(VALU_DEP_1)
	v_cmpx_gt_u64_e64 s[16:17], v[124:125]
	s_cbranch_execz .LBB0_10
; %bb.1:
	s_clause 0x1
	s_load_b128 s[4:7], s[0:1], 0x18
	s_load_b128 s[8:11], s[0:1], 0x0
	v_mul_lo_u16 v1, v1, 35
	v_mul_hi_u32 v85, 0x24924925, v124
	s_mov_b32 s17, 0x3fe77f67
	s_mov_b32 s16, 0x5476071b
	s_load_b64 s[0:1], s[0:1], 0x38
	v_sub_nc_u16 v28, v0, v1
                                        ; implicit-def: $vgpr88_vgpr89
                                        ; implicit-def: $vgpr92_vgpr93
                                        ; implicit-def: $vgpr96_vgpr97
	s_delay_alu instid0(VALU_DEP_2) | instskip(NEXT) | instid1(VALU_DEP_2)
	v_sub_nc_u32_e32 v86, v124, v85
	v_and_b32_e32 v125, 0xffff, v28
	s_delay_alu instid0(VALU_DEP_2) | instskip(NEXT) | instid1(VALU_DEP_2)
	v_lshrrev_b32_e32 v86, 1, v86
	v_lshlrev_b32_e32 v110, 4, v125
	s_wait_kmcnt 0x0
	s_load_b128 s[12:15], s[4:5], 0x0
	s_delay_alu instid0(VALU_DEP_2) | instskip(NEXT) | instid1(VALU_DEP_1)
	v_add_nc_u32_e32 v85, v86, v85
	v_lshrrev_b32_e32 v85, 2, v85
	s_wait_kmcnt 0x0
	v_mad_co_u64_u32 v[0:1], null, s14, v124, 0
	v_mad_co_u64_u32 v[2:3], null, s12, v125, 0
	s_mul_u64 s[2:3], s[12:13], 0x230
	s_delay_alu instid0(VALU_DEP_1) | instskip(SKIP_2) | instid1(VALU_DEP_1)
	v_mad_co_u64_u32 v[4:5], null, s15, v124, v[1:2]
	s_mov_b32 s14, 0xe976ee23
	s_mov_b32 s15, 0xbfe11646
	v_mad_co_u64_u32 v[5:6], null, s13, v125, v[3:4]
	v_mov_b32_e32 v1, v4
	s_mov_b32 s12, 0x36b3c0b5
	s_mov_b32 s13, 0x3fac98ee
	s_delay_alu instid0(VALU_DEP_1) | instskip(NEXT) | instid1(VALU_DEP_3)
	v_lshlrev_b64_e32 v[0:1], 4, v[0:1]
	v_mov_b32_e32 v3, v5
	s_delay_alu instid0(VALU_DEP_2) | instskip(NEXT) | instid1(VALU_DEP_2)
	v_add_co_u32 v0, vcc_lo, s18, v0
	v_lshlrev_b64_e32 v[2:3], 4, v[2:3]
	s_delay_alu instid0(VALU_DEP_4) | instskip(SKIP_2) | instid1(VALU_DEP_2)
	v_add_co_ci_u32_e32 v1, vcc_lo, s19, v1, vcc_lo
	s_mov_b32 s19, 0x3fd5d0dc
	s_mov_b32 s18, 0xb247c609
	v_add_co_u32 v16, vcc_lo, v0, v2
	s_wait_alu 0xfffd
	v_add_co_ci_u32_e32 v17, vcc_lo, v1, v3, vcc_lo
	s_clause 0x1
	global_load_b128 v[0:3], v110, s[8:9]
	global_load_b128 v[4:7], v110, s[8:9] offset:560
	v_add_co_u32 v18, vcc_lo, v16, s2
	s_wait_alu 0xfffd
	v_add_co_ci_u32_e32 v19, vcc_lo, s3, v17, vcc_lo
	s_clause 0x1
	global_load_b128 v[8:11], v110, s[8:9] offset:1120
	global_load_b128 v[12:15], v110, s[8:9] offset:1680
	v_add_co_u32 v20, vcc_lo, v18, s2
	s_wait_alu 0xfffd
	v_add_co_ci_u32_e32 v21, vcc_lo, s3, v19, vcc_lo
	global_load_b128 v[29:32], v[16:17], off
	v_add_co_u32 v22, vcc_lo, v20, s2
	s_wait_alu 0xfffd
	v_add_co_ci_u32_e32 v23, vcc_lo, s3, v21, vcc_lo
	s_clause 0x1
	global_load_b128 v[33:36], v[18:19], off
	global_load_b128 v[37:40], v[20:21], off
	v_add_co_u32 v16, vcc_lo, v22, s2
	s_wait_alu 0xfffd
	v_add_co_ci_u32_e32 v17, vcc_lo, s3, v23, vcc_lo
	s_clause 0x1
	global_load_b128 v[41:44], v[22:23], off
	global_load_b128 v[45:48], v[16:17], off
	v_add_co_u32 v24, vcc_lo, v16, s2
	s_wait_alu 0xfffd
	v_add_co_ci_u32_e32 v25, vcc_lo, s3, v17, vcc_lo
	s_delay_alu instid0(VALU_DEP_2) | instskip(SKIP_1) | instid1(VALU_DEP_2)
	v_add_co_u32 v53, vcc_lo, v24, s2
	s_wait_alu 0xfffd
	v_add_co_ci_u32_e32 v54, vcc_lo, s3, v25, vcc_lo
	s_clause 0x1
	global_load_b128 v[20:23], v110, s[8:9] offset:2240
	global_load_b128 v[16:19], v110, s[8:9] offset:2800
	global_load_b128 v[49:52], v[24:25], off
	global_load_b128 v[24:27], v110, s[8:9] offset:3360
	global_load_b128 v[53:56], v[53:54], off
	s_load_b128 s[4:7], s[6:7], 0x0
	s_mov_b32 s2, 0x37e14327
	s_mov_b32 s3, 0x3fe948f6
	v_cmp_gt_u16_e32 vcc_lo, 14, v28
	s_wait_loadcnt 0x9
	v_mul_f64_e32 v[57:58], v[31:32], v[2:3]
	v_mul_f64_e32 v[59:60], v[29:30], v[2:3]
	s_wait_loadcnt 0x8
	v_mul_f64_e32 v[61:62], v[35:36], v[6:7]
	v_mul_f64_e32 v[63:64], v[33:34], v[6:7]
	;; [unrolled: 3-line block ×7, first 2 shown]
	v_fma_f64 v[29:30], v[29:30], v[0:1], v[57:58]
	v_fma_f64 v[31:32], v[31:32], v[0:1], -v[59:60]
	v_mul_lo_u32 v57, v85, 7
	v_fma_f64 v[33:34], v[33:34], v[4:5], v[61:62]
	v_fma_f64 v[35:36], v[35:36], v[4:5], -v[63:64]
	v_fma_f64 v[37:38], v[37:38], v[8:9], v[65:66]
	v_fma_f64 v[39:40], v[39:40], v[8:9], -v[67:68]
	v_sub_nc_u32_e32 v57, v124, v57
	v_fma_f64 v[41:42], v[41:42], v[12:13], v[69:70]
	v_fma_f64 v[43:44], v[43:44], v[12:13], -v[71:72]
	s_delay_alu instid0(VALU_DEP_3)
	v_mul_u32_u24_e32 v57, 0xf5, v57
	v_fma_f64 v[45:46], v[45:46], v[20:21], v[73:74]
	v_fma_f64 v[47:48], v[47:48], v[20:21], -v[75:76]
	v_fma_f64 v[49:50], v[49:50], v[16:17], v[77:78]
	v_fma_f64 v[51:52], v[51:52], v[16:17], -v[79:80]
	;; [unrolled: 2-line block ×3, first 2 shown]
	v_lshlrev_b32_e32 v127, 4, v57
	s_delay_alu instid0(VALU_DEP_1)
	v_add_nc_u32_e32 v126, v110, v127
	ds_store_b128 v126, v[29:32]
	ds_store_b128 v126, v[33:36] offset:560
	ds_store_b128 v126, v[37:40] offset:1120
	;; [unrolled: 1-line block ×6, first 2 shown]
	global_wb scope:SCOPE_SE
	s_wait_dscnt 0x0
	s_wait_kmcnt 0x0
	s_barrier_signal -1
	s_barrier_wait -1
	global_inv scope:SCOPE_SE
	ds_load_b128 v[29:32], v126 offset:560
	ds_load_b128 v[33:36], v126 offset:3360
	;; [unrolled: 1-line block ×6, first 2 shown]
	s_wait_dscnt 0x4
	v_add_f64_e32 v[53:54], v[29:30], v[33:34]
	v_add_f64_e32 v[55:56], v[31:32], v[35:36]
	s_wait_dscnt 0x2
	v_add_f64_e32 v[57:58], v[41:42], v[37:38]
	v_add_f64_e32 v[59:60], v[43:44], v[39:40]
	s_wait_dscnt 0x0
	v_add_f64_e32 v[61:62], v[45:46], v[49:50]
	v_add_f64_e32 v[63:64], v[47:48], v[51:52]
	v_add_f64_e64 v[37:38], v[41:42], -v[37:38]
	v_add_f64_e64 v[39:40], v[43:44], -v[39:40]
	;; [unrolled: 1-line block ×6, first 2 shown]
	v_add_f64_e32 v[29:30], v[57:58], v[53:54]
	v_add_f64_e32 v[31:32], v[59:60], v[55:56]
	v_add_f64_e64 v[45:46], v[53:54], -v[61:62]
	v_add_f64_e64 v[47:48], v[55:56], -v[63:64]
	;; [unrolled: 1-line block ×10, first 2 shown]
	v_add_f64_e32 v[37:38], v[41:42], v[37:38]
	v_add_f64_e32 v[39:40], v[43:44], v[39:40]
	v_add_f64_e64 v[41:42], v[33:34], -v[41:42]
	v_add_f64_e64 v[43:44], v[35:36], -v[43:44]
	v_add_f64_e32 v[61:62], v[61:62], v[29:30]
	v_add_f64_e32 v[63:64], v[63:64], v[31:32]
	ds_load_b128 v[29:32], v126
	s_wait_alu 0xfffe
	v_mul_f64_e32 v[45:46], s[2:3], v[45:46]
	v_mul_f64_e32 v[47:48], s[2:3], v[47:48]
	s_mov_b32 s2, 0x429ad128
	v_mul_f64_e32 v[57:58], s[12:13], v[49:50]
	v_mul_f64_e32 v[59:60], s[12:13], v[51:52]
	v_mul_f64_e32 v[65:66], s[14:15], v[65:66]
	v_mul_f64_e32 v[67:68], s[14:15], v[67:68]
	s_mov_b32 s3, 0x3febfeb5
	s_mov_b32 s14, 0xaaaaaaaa
	s_wait_alu 0xfffe
	v_mul_f64_e32 v[73:74], s[2:3], v[69:70]
	v_mul_f64_e32 v[75:76], s[2:3], v[71:72]
	s_mov_b32 s15, 0xbff2aaaa
	v_add_f64_e32 v[33:34], v[37:38], v[33:34]
	v_add_f64_e32 v[35:36], v[39:40], v[35:36]
	global_wb scope:SCOPE_SE
	s_wait_dscnt 0x0
	s_barrier_signal -1
	s_barrier_wait -1
	global_inv scope:SCOPE_SE
	v_add_f64_e32 v[29:30], v[29:30], v[61:62]
	v_add_f64_e32 v[31:32], v[31:32], v[63:64]
	v_fma_f64 v[37:38], v[49:50], s[12:13], v[45:46]
	v_fma_f64 v[39:40], v[51:52], s[12:13], v[47:48]
	v_fma_f64 v[49:50], v[53:54], s[16:17], -v[57:58]
	v_fma_f64 v[51:52], v[55:56], s[16:17], -v[59:60]
	s_mov_b32 s17, 0xbfe77f67
	v_fma_f64 v[57:58], v[41:42], s[18:19], v[65:66]
	v_fma_f64 v[59:60], v[43:44], s[18:19], v[67:68]
	s_mov_b32 s19, 0xbfd5d0dc
	v_fma_f64 v[65:66], v[69:70], s[2:3], -v[65:66]
	v_fma_f64 v[67:68], v[71:72], s[2:3], -v[67:68]
	s_wait_alu 0xfffe
	v_fma_f64 v[41:42], v[41:42], s[18:19], -v[73:74]
	v_fma_f64 v[43:44], v[43:44], s[18:19], -v[75:76]
	v_fma_f64 v[45:46], v[53:54], s[16:17], -v[45:46]
	v_fma_f64 v[47:48], v[55:56], s[16:17], -v[47:48]
	s_mov_b32 s2, 0x37c3f68c
	s_mov_b32 s3, 0x3fdc38aa
	v_fma_f64 v[61:62], v[61:62], s[14:15], v[29:30]
	v_fma_f64 v[63:64], v[63:64], s[14:15], v[31:32]
	s_wait_alu 0xfffe
	v_fma_f64 v[53:54], v[33:34], s[2:3], v[57:58]
	v_fma_f64 v[55:56], v[35:36], s[2:3], v[59:60]
	v_fma_f64 v[57:58], v[33:34], s[2:3], v[65:66]
	v_fma_f64 v[59:60], v[35:36], s[2:3], v[67:68]
	v_fma_f64 v[65:66], v[33:34], s[2:3], v[41:42]
	v_fma_f64 v[67:68], v[35:36], s[2:3], v[43:44]
	v_add_co_u32 v100, s2, s8, v110
	s_wait_alu 0xf1ff
	v_add_co_ci_u32_e64 v101, null, s9, 0, s2
	v_add_f64_e32 v[69:70], v[37:38], v[61:62]
	v_add_f64_e32 v[71:72], v[39:40], v[63:64]
	;; [unrolled: 1-line block ×6, first 2 shown]
	v_mul_lo_u16 v49, v28, 7
	s_delay_alu instid0(VALU_DEP_1) | instskip(NEXT) | instid1(VALU_DEP_1)
	v_and_b32_e32 v49, 0xffff, v49
	v_lshl_add_u32 v111, v49, 4, v127
	v_add_f64_e32 v[33:34], v[69:70], v[55:56]
	v_add_f64_e64 v[35:36], v[71:72], -v[53:54]
	v_add_f64_e32 v[37:38], v[73:74], v[67:68]
	v_add_f64_e64 v[39:40], v[75:76], -v[65:66]
	v_add_f64_e64 v[41:42], v[45:46], -v[59:60]
	v_add_f64_e32 v[43:44], v[57:58], v[47:48]
	v_add_f64_e32 v[45:46], v[45:46], v[59:60]
	v_add_f64_e64 v[47:48], v[47:48], -v[57:58]
	v_add_f64_e64 v[60:61], v[73:74], -v[67:68]
	v_add_f64_e32 v[62:63], v[65:66], v[75:76]
	v_add_f64_e64 v[68:69], v[69:70], -v[55:56]
	v_add_f64_e32 v[70:71], v[53:54], v[71:72]
	ds_store_b128 v111, v[29:32]
	ds_store_b128 v111, v[33:36] offset:16
	ds_store_b128 v111, v[37:40] offset:32
	;; [unrolled: 1-line block ×6, first 2 shown]
	global_wb scope:SCOPE_SE
	s_wait_dscnt 0x0
	s_barrier_signal -1
	s_barrier_wait -1
	global_inv scope:SCOPE_SE
	ds_load_b128 v[64:67], v126
	ds_load_b128 v[84:87], v126 offset:784
	ds_load_b128 v[80:83], v126 offset:1568
	;; [unrolled: 1-line block ×4, first 2 shown]
	s_and_saveexec_b32 s2, vcc_lo
	s_cbranch_execz .LBB0_3
; %bb.2:
	ds_load_b128 v[60:63], v126 offset:560
	ds_load_b128 v[68:71], v126 offset:1344
	;; [unrolled: 1-line block ×5, first 2 shown]
.LBB0_3:
	s_wait_alu 0xfffe
	s_or_b32 exec_lo, exec_lo, s2
	v_and_b32_e32 v28, 0xff, v125
	v_add_nc_u16 v29, v125, 35
	s_mov_b32 s2, 0x134454ff
	s_mov_b32 s3, 0x3fee6f0e
	;; [unrolled: 1-line block ×3, first 2 shown]
	v_mul_lo_u16 v28, v28, 37
	v_and_b32_e32 v30, 0xff, v29
	s_wait_alu 0xfffe
	s_mov_b32 s12, s2
	s_mov_b32 s15, 0xbfe2cf23
	v_lshrrev_b16 v28, 8, v28
	v_mul_lo_u16 v30, v30, 37
	s_delay_alu instid0(VALU_DEP_2) | instskip(NEXT) | instid1(VALU_DEP_2)
	v_sub_nc_u16 v31, v125, v28
	v_lshrrev_b16 v30, 8, v30
	s_delay_alu instid0(VALU_DEP_2) | instskip(NEXT) | instid1(VALU_DEP_2)
	v_lshrrev_b16 v31, 1, v31
	v_sub_nc_u16 v32, v29, v30
	s_delay_alu instid0(VALU_DEP_2) | instskip(NEXT) | instid1(VALU_DEP_2)
	v_and_b32_e32 v31, 0x7f, v31
	v_lshrrev_b16 v32, 1, v32
	s_delay_alu instid0(VALU_DEP_2) | instskip(NEXT) | instid1(VALU_DEP_2)
	v_add_nc_u16 v28, v31, v28
	v_and_b32_e32 v31, 0x7f, v32
	s_delay_alu instid0(VALU_DEP_2) | instskip(NEXT) | instid1(VALU_DEP_2)
	v_lshrrev_b16 v186, 2, v28
	v_add_nc_u16 v28, v31, v30
	s_delay_alu instid0(VALU_DEP_2) | instskip(NEXT) | instid1(VALU_DEP_2)
	v_mul_lo_u16 v30, v186, 7
	v_lshrrev_b16 v128, 2, v28
	s_delay_alu instid0(VALU_DEP_2) | instskip(NEXT) | instid1(VALU_DEP_2)
	v_sub_nc_u16 v28, v125, v30
	v_mul_lo_u16 v30, v128, 7
	s_delay_alu instid0(VALU_DEP_2) | instskip(NEXT) | instid1(VALU_DEP_2)
	v_and_b32_e32 v187, 0xff, v28
	v_sub_nc_u16 v28, v29, v30
	s_delay_alu instid0(VALU_DEP_2) | instskip(NEXT) | instid1(VALU_DEP_2)
	v_lshlrev_b32_e32 v29, 6, v187
	v_and_b32_e32 v129, 0xff, v28
	s_clause 0x2
	global_load_b128 v[56:59], v29, s[10:11]
	global_load_b128 v[48:51], v29, s[10:11] offset:16
	global_load_b128 v[44:47], v29, s[10:11] offset:32
	v_lshlrev_b32_e32 v32, 6, v129
	s_clause 0x4
	global_load_b128 v[52:55], v29, s[10:11] offset:48
	global_load_b128 v[28:31], v32, s[10:11]
	global_load_b128 v[40:43], v32, s[10:11] offset:16
	global_load_b128 v[36:39], v32, s[10:11] offset:32
	global_load_b128 v[32:35], v32, s[10:11] offset:48
	global_wb scope:SCOPE_SE
	s_wait_loadcnt_dscnt 0x0
	s_barrier_signal -1
	s_barrier_wait -1
	global_inv scope:SCOPE_SE
	v_mul_f64_e32 v[102:103], v[86:87], v[58:59]
	v_mul_f64_e32 v[104:105], v[84:85], v[58:59]
	;; [unrolled: 1-line block ×16, first 2 shown]
	v_fma_f64 v[84:85], v[84:85], v[56:57], -v[102:103]
	v_fma_f64 v[86:87], v[86:87], v[56:57], v[104:105]
	v_fma_f64 v[106:107], v[80:81], v[48:49], -v[106:107]
	v_fma_f64 v[142:143], v[72:73], v[44:45], -v[108:109]
	v_fma_f64 v[108:109], v[82:83], v[48:49], v[112:113]
	v_fma_f64 v[112:113], v[76:77], v[52:53], -v[114:115]
	v_fma_f64 v[114:115], v[74:75], v[44:45], v[116:117]
	v_fma_f64 v[116:117], v[78:79], v[52:53], v[118:119]
	v_fma_f64 v[78:79], v[68:69], v[28:29], -v[120:121]
	v_fma_f64 v[82:83], v[70:71], v[28:29], v[122:123]
	v_fma_f64 v[76:77], v[88:89], v[40:41], -v[130:131]
	v_fma_f64 v[70:71], v[92:93], v[36:37], -v[132:133]
	;; [unrolled: 1-line block ×3, first 2 shown]
	v_fma_f64 v[80:81], v[90:91], v[40:41], v[136:137]
	v_fma_f64 v[74:75], v[94:95], v[36:37], v[138:139]
	;; [unrolled: 1-line block ×3, first 2 shown]
	v_add_f64_e32 v[130:131], v[64:65], v[84:85]
	v_add_f64_e32 v[136:137], v[66:67], v[86:87]
	;; [unrolled: 1-line block ×3, first 2 shown]
	v_add_f64_e64 v[140:141], v[106:107], -v[142:143]
	v_add_f64_e32 v[90:91], v[84:85], v[112:113]
	v_add_f64_e32 v[92:93], v[108:109], v[114:115]
	;; [unrolled: 1-line block ×3, first 2 shown]
	v_add_f64_e64 v[132:133], v[86:87], -v[116:117]
	v_add_f64_e64 v[134:135], v[108:109], -v[114:115]
	;; [unrolled: 1-line block ×3, first 2 shown]
	v_add_f64_e32 v[102:103], v[76:77], v[70:71]
	v_add_f64_e32 v[118:119], v[78:79], v[68:69]
	v_add_f64_e64 v[104:105], v[78:79], -v[68:69]
	v_add_f64_e32 v[120:121], v[80:81], v[74:75]
	v_add_f64_e32 v[122:123], v[82:83], v[72:73]
	v_add_f64_e64 v[96:97], v[82:83], -v[72:73]
	v_add_f64_e64 v[98:99], v[80:81], -v[74:75]
	;; [unrolled: 1-line block ×16, first 2 shown]
	v_add_f64_e32 v[130:131], v[130:131], v[106:107]
	v_add_f64_e32 v[136:137], v[136:137], v[108:109]
	v_fma_f64 v[88:89], v[88:89], -0.5, v[64:65]
	v_fma_f64 v[90:91], v[90:91], -0.5, v[64:65]
	;; [unrolled: 1-line block ×6, first 2 shown]
	v_add_f64_e64 v[102:103], v[76:77], -v[70:71]
	v_fma_f64 v[66:67], v[120:121], -0.5, v[62:63]
	v_fma_f64 v[120:121], v[122:123], -0.5, v[62:63]
	v_add_f64_e64 v[122:123], v[84:85], -v[106:107]
	v_add_f64_e64 v[84:85], v[106:107], -v[84:85]
	v_add_f64_e32 v[86:87], v[86:87], v[152:153]
	v_add_f64_e32 v[106:107], v[154:155], v[156:157]
	;; [unrolled: 1-line block ×5, first 2 shown]
	v_fma_f64 v[170:171], v[132:133], s[2:3], v[88:89]
	s_wait_alu 0xfffe
	v_fma_f64 v[88:89], v[132:133], s[12:13], v[88:89]
	v_fma_f64 v[172:173], v[134:135], s[12:13], v[90:91]
	;; [unrolled: 1-line block ×13, first 2 shown]
	s_mov_b32 s12, 0x4755a5e
	s_mov_b32 s13, 0x3fe2cf23
	s_wait_alu 0xfffe
	s_mov_b32 s14, s12
	v_add_f64_e32 v[122:123], v[122:123], v[144:145]
	v_add_f64_e32 v[84:85], v[84:85], v[146:147]
	;; [unrolled: 1-line block ×7, first 2 shown]
	v_and_b32_e32 v130, 0xffff, v186
	v_fma_f64 v[136:137], v[134:135], s[12:13], v[170:171]
	s_wait_alu 0xfffe
	v_fma_f64 v[88:89], v[134:135], s[14:15], v[88:89]
	v_fma_f64 v[134:135], v[132:133], s[12:13], v[172:173]
	;; [unrolled: 1-line block ×13, first 2 shown]
	s_mov_b32 s14, 0x372fe950
	s_mov_b32 s15, 0x3fd3c6ef
	v_mul_u32_u24_e32 v130, 35, v130
	s_delay_alu instid0(VALU_DEP_1) | instskip(NEXT) | instid1(VALU_DEP_1)
	v_add_nc_u32_e32 v130, v130, v187
	v_lshl_add_u32 v130, v130, 4, v127
	s_wait_alu 0xfffe
	v_fma_f64 v[116:117], v[122:123], s[14:15], v[136:137]
	v_fma_f64 v[120:121], v[122:123], s[14:15], v[88:89]
	;; [unrolled: 1-line block ×14, first 2 shown]
	ds_store_b128 v130, v[112:115]
	ds_store_b128 v130, v[116:119] offset:112
	ds_store_b128 v130, v[131:134] offset:224
	ds_store_b128 v130, v[135:138] offset:336
	ds_store_b128 v130, v[120:123] offset:448
	s_and_saveexec_b32 s16, vcc_lo
	s_cbranch_execz .LBB0_5
; %bb.4:
	v_mul_f64_e32 v[104:105], s[2:3], v[104:105]
	v_add_f64_e32 v[62:63], v[62:63], v[82:83]
	v_add_f64_e32 v[60:61], v[60:61], v[78:79]
	v_mul_f64_e32 v[78:79], s[2:3], v[96:97]
	v_mul_f64_e32 v[96:97], s[12:13], v[102:103]
	;; [unrolled: 1-line block ×3, first 2 shown]
	v_add_f64_e64 v[66:67], v[66:67], -v[104:105]
	v_add_f64_e32 v[62:63], v[62:63], v[80:81]
	v_add_f64_e32 v[60:61], v[60:61], v[76:77]
	;; [unrolled: 1-line block ×3, first 2 shown]
	v_mul_f64_e32 v[78:79], s[14:15], v[108:109]
	v_mul_f64_e32 v[76:77], s[14:15], v[106:107]
	v_add_f64_e64 v[66:67], v[66:67], -v[96:97]
	v_add_f64_e32 v[74:75], v[62:63], v[74:75]
	v_add_f64_e32 v[60:61], v[60:61], v[70:71]
	;; [unrolled: 1-line block ×3, first 2 shown]
	s_delay_alu instid0(VALU_DEP_4) | instskip(NEXT) | instid1(VALU_DEP_4)
	v_add_f64_e32 v[62:63], v[78:79], v[66:67]
	v_add_f64_e32 v[66:67], v[74:75], v[72:73]
	s_delay_alu instid0(VALU_DEP_4) | instskip(NEXT) | instid1(VALU_DEP_4)
	v_add_f64_e32 v[64:65], v[60:61], v[68:69]
	v_add_f64_e32 v[60:61], v[76:77], v[70:71]
	v_and_b32_e32 v68, 0xffff, v128
	s_delay_alu instid0(VALU_DEP_1) | instskip(NEXT) | instid1(VALU_DEP_1)
	v_mul_u32_u24_e32 v68, 35, v68
	v_add_nc_u32_e32 v68, v68, v129
	s_delay_alu instid0(VALU_DEP_1)
	v_lshl_add_u32 v68, v68, 4, v127
	ds_store_b128 v68, v[84:87] offset:224
	ds_store_b128 v68, v[88:91] offset:336
	ds_store_b128 v68, v[64:67]
	ds_store_b128 v68, v[60:63] offset:112
	ds_store_b128 v68, v[92:95] offset:448
.LBB0_5:
	s_wait_alu 0xfffe
	s_or_b32 exec_lo, exec_lo, s16
	v_mad_co_u64_u32 v[72:73], null, 0x60, v125, s[10:11]
	global_wb scope:SCOPE_SE
	s_wait_dscnt 0x0
	s_barrier_signal -1
	s_barrier_wait -1
	global_inv scope:SCOPE_SE
	s_mov_b32 s10, 0x37e14327
	s_mov_b32 s11, 0x3fe948f6
	s_clause 0x5
	global_load_b128 v[64:67], v[72:73], off offset:448
	global_load_b128 v[60:63], v[72:73], off offset:464
	;; [unrolled: 1-line block ×6, first 2 shown]
	ds_load_b128 v[96:99], v126 offset:560
	ds_load_b128 v[102:105], v126 offset:1120
	ds_load_b128 v[106:109], v126 offset:3360
	ds_load_b128 v[112:115], v126 offset:2800
	ds_load_b128 v[116:119], v126 offset:1680
	ds_load_b128 v[120:123], v126 offset:2240
	s_mov_b32 s13, 0xbfe11646
	s_mov_b32 s12, 0xe976ee23
	;; [unrolled: 1-line block ×12, first 2 shown]
	s_wait_alu 0xfffe
	s_mov_b32 s28, s2
	s_mov_b32 s19, 0x3fe77f67
	;; [unrolled: 1-line block ×8, first 2 shown]
	s_add_nc_u64 s[8:9], s[8:9], 0xf50
	s_wait_loadcnt_dscnt 0x505
	v_mul_f64_e32 v[131:132], v[98:99], v[66:67]
	v_mul_f64_e32 v[133:134], v[96:97], v[66:67]
	s_wait_loadcnt_dscnt 0x404
	v_mul_f64_e32 v[135:136], v[104:105], v[62:63]
	v_mul_f64_e32 v[137:138], v[102:103], v[62:63]
	s_wait_loadcnt_dscnt 0x303
	v_mul_f64_e32 v[139:140], v[108:109], v[70:71]
	v_mul_f64_e32 v[141:142], v[106:107], v[70:71]
	s_wait_loadcnt_dscnt 0x202
	v_mul_f64_e32 v[143:144], v[114:115], v[82:83]
	v_mul_f64_e32 v[145:146], v[112:113], v[82:83]
	s_wait_loadcnt_dscnt 0x101
	v_mul_f64_e32 v[147:148], v[118:119], v[78:79]
	v_mul_f64_e32 v[149:150], v[116:117], v[78:79]
	s_wait_loadcnt_dscnt 0x0
	v_mul_f64_e32 v[151:152], v[122:123], v[74:75]
	v_mul_f64_e32 v[153:154], v[120:121], v[74:75]
	v_fma_f64 v[96:97], v[96:97], v[64:65], -v[131:132]
	v_fma_f64 v[98:99], v[98:99], v[64:65], v[133:134]
	v_fma_f64 v[102:103], v[102:103], v[60:61], -v[135:136]
	v_fma_f64 v[104:105], v[104:105], v[60:61], v[137:138]
	;; [unrolled: 2-line block ×6, first 2 shown]
	v_add_f64_e32 v[131:132], v[96:97], v[106:107]
	v_add_f64_e32 v[133:134], v[98:99], v[108:109]
	;; [unrolled: 1-line block ×4, first 2 shown]
	v_add_f64_e64 v[102:103], v[102:103], -v[112:113]
	v_add_f64_e64 v[104:105], v[104:105], -v[114:115]
	v_add_f64_e32 v[112:113], v[116:117], v[120:121]
	v_add_f64_e32 v[114:115], v[118:119], v[122:123]
	v_add_f64_e64 v[116:117], v[120:121], -v[116:117]
	v_add_f64_e64 v[118:119], v[122:123], -v[118:119]
	;; [unrolled: 1-line block ×4, first 2 shown]
	v_add_f64_e32 v[96:97], v[135:136], v[131:132]
	v_add_f64_e32 v[98:99], v[137:138], v[133:134]
	v_add_f64_e64 v[120:121], v[131:132], -v[112:113]
	v_add_f64_e64 v[122:123], v[133:134], -v[114:115]
	;; [unrolled: 1-line block ×6, first 2 shown]
	v_add_f64_e32 v[102:103], v[116:117], v[102:103]
	v_add_f64_e32 v[104:105], v[118:119], v[104:105]
	v_add_f64_e64 v[116:117], v[106:107], -v[116:117]
	v_add_f64_e64 v[118:119], v[108:109], -v[118:119]
	;; [unrolled: 1-line block ×4, first 2 shown]
	v_add_f64_e32 v[147:148], v[112:113], v[96:97]
	v_add_f64_e32 v[149:150], v[114:115], v[98:99]
	v_add_f64_e64 v[112:113], v[112:113], -v[135:136]
	v_add_f64_e64 v[114:115], v[114:115], -v[137:138]
	ds_load_b128 v[96:99], v126
	v_mul_f64_e32 v[120:121], s[10:11], v[120:121]
	v_mul_f64_e32 v[122:123], s[10:11], v[122:123]
	;; [unrolled: 1-line block ×6, first 2 shown]
	v_add_f64_e32 v[102:103], v[102:103], v[106:107]
	v_add_f64_e32 v[104:105], v[104:105], v[108:109]
	s_mov_b32 s13, 0x3fe11646
	s_wait_dscnt 0x0
	v_add_f64_e32 v[96:97], v[96:97], v[147:148]
	v_add_f64_e32 v[98:99], v[98:99], v[149:150]
	v_mul_f64_e32 v[135:136], s[14:15], v[112:113]
	v_mul_f64_e32 v[137:138], s[14:15], v[114:115]
	v_fma_f64 v[106:107], v[112:113], s[14:15], v[120:121]
	v_fma_f64 v[108:109], v[114:115], s[14:15], v[122:123]
	;; [unrolled: 1-line block ×4, first 2 shown]
	v_fma_f64 v[139:140], v[143:144], s[28:29], -v[139:140]
	v_fma_f64 v[141:142], v[145:146], s[28:29], -v[141:142]
	v_fma_f64 v[116:117], v[116:117], s[24:25], v[151:152]
	v_fma_f64 v[118:119], v[118:119], s[24:25], v[153:154]
	v_fma_f64 v[120:121], v[131:132], s[20:21], -v[120:121]
	v_fma_f64 v[122:123], v[133:134], s[20:21], -v[122:123]
	v_fma_f64 v[143:144], v[147:148], s[16:17], v[96:97]
	v_fma_f64 v[145:146], v[149:150], s[16:17], v[98:99]
	s_wait_alu 0xfffe
	v_fma_f64 v[131:132], v[131:132], s[18:19], -v[135:136]
	v_fma_f64 v[133:134], v[133:134], s[18:19], -v[137:138]
	v_fma_f64 v[135:136], v[102:103], s[26:27], v[112:113]
	v_fma_f64 v[137:138], v[104:105], s[26:27], v[114:115]
	v_fma_f64 v[139:140], v[102:103], s[26:27], v[139:140]
	v_fma_f64 v[141:142], v[104:105], s[26:27], v[141:142]
	v_fma_f64 v[147:148], v[102:103], s[26:27], v[116:117]
	v_fma_f64 v[149:150], v[104:105], s[26:27], v[118:119]
	s_mov_b32 s27, 0xbfdc38aa
	v_add_f64_e32 v[151:152], v[106:107], v[143:144]
	v_add_f64_e32 v[153:154], v[108:109], v[145:146]
	;; [unrolled: 1-line block ×7, first 2 shown]
	v_add_f64_e64 v[104:105], v[153:154], -v[135:136]
	v_add_f64_e32 v[106:107], v[149:150], v[120:121]
	v_add_f64_e64 v[108:109], v[122:123], -v[147:148]
	v_add_f64_e64 v[112:113], v[116:117], -v[141:142]
	v_add_f64_e32 v[114:115], v[139:140], v[118:119]
	v_add_f64_e32 v[116:117], v[141:142], v[116:117]
	v_add_f64_e64 v[118:119], v[118:119], -v[139:140]
	v_add_f64_e64 v[120:121], v[120:121], -v[149:150]
	v_add_f64_e32 v[122:123], v[147:148], v[122:123]
	v_add_f64_e64 v[131:132], v[151:152], -v[137:138]
	v_add_f64_e32 v[133:134], v[135:136], v[153:154]
	ds_store_b128 v126, v[96:99]
	ds_store_b128 v126, v[102:105] offset:560
	ds_store_b128 v126, v[106:109] offset:1120
	;; [unrolled: 1-line block ×6, first 2 shown]
	global_wb scope:SCOPE_SE
	s_wait_dscnt 0x0
	s_barrier_signal -1
	s_barrier_wait -1
	global_inv scope:SCOPE_SE
	s_clause 0x6
	global_load_b128 v[96:99], v[100:101], off offset:3920
	global_load_b128 v[100:103], v110, s[8:9] offset:560
	global_load_b128 v[104:107], v110, s[8:9] offset:1120
	global_load_b128 v[112:115], v110, s[8:9] offset:1680
	global_load_b128 v[116:119], v110, s[8:9] offset:2240
	global_load_b128 v[120:123], v110, s[8:9] offset:2800
	global_load_b128 v[131:134], v110, s[8:9] offset:3360
	ds_load_b128 v[135:138], v126
	ds_load_b128 v[139:142], v126 offset:560
	ds_load_b128 v[143:146], v126 offset:1120
	;; [unrolled: 1-line block ×6, first 2 shown]
	s_wait_loadcnt_dscnt 0x606
	v_mul_f64_e32 v[108:109], v[137:138], v[98:99]
	v_mul_f64_e32 v[98:99], v[135:136], v[98:99]
	s_wait_loadcnt_dscnt 0x505
	v_mul_f64_e32 v[163:164], v[141:142], v[102:103]
	v_mul_f64_e32 v[102:103], v[139:140], v[102:103]
	;; [unrolled: 3-line block ×7, first 2 shown]
	v_fma_f64 v[106:107], v[135:136], v[96:97], -v[108:109]
	v_fma_f64 v[108:109], v[137:138], v[96:97], v[98:99]
	v_fma_f64 v[96:97], v[139:140], v[100:101], -v[163:164]
	v_fma_f64 v[98:99], v[141:142], v[100:101], v[102:103]
	;; [unrolled: 2-line block ×7, first 2 shown]
	ds_store_b128 v126, v[106:109]
	ds_store_b128 v126, v[96:99] offset:560
	ds_store_b128 v126, v[100:103] offset:1120
	;; [unrolled: 1-line block ×6, first 2 shown]
	global_wb scope:SCOPE_SE
	s_wait_dscnt 0x0
	s_barrier_signal -1
	s_barrier_wait -1
	global_inv scope:SCOPE_SE
	ds_load_b128 v[96:99], v126 offset:560
	ds_load_b128 v[100:103], v126 offset:3360
	ds_load_b128 v[104:107], v126 offset:2800
	ds_load_b128 v[112:115], v126 offset:1120
	ds_load_b128 v[116:119], v126 offset:1680
	ds_load_b128 v[120:123], v126 offset:2240
	s_wait_dscnt 0x4
	v_add_f64_e32 v[108:109], v[96:97], v[100:101]
	v_add_f64_e32 v[131:132], v[98:99], v[102:103]
	s_wait_dscnt 0x2
	v_add_f64_e32 v[133:134], v[112:113], v[104:105]
	v_add_f64_e32 v[135:136], v[114:115], v[106:107]
	v_add_f64_e64 v[104:105], v[112:113], -v[104:105]
	v_add_f64_e64 v[106:107], v[114:115], -v[106:107]
	s_wait_dscnt 0x0
	v_add_f64_e32 v[112:113], v[116:117], v[120:121]
	v_add_f64_e32 v[114:115], v[118:119], v[122:123]
	v_add_f64_e64 v[116:117], v[120:121], -v[116:117]
	v_add_f64_e64 v[118:119], v[122:123], -v[118:119]
	;; [unrolled: 1-line block ×4, first 2 shown]
	v_add_f64_e32 v[96:97], v[133:134], v[108:109]
	v_add_f64_e32 v[98:99], v[135:136], v[131:132]
	v_add_f64_e64 v[120:121], v[108:109], -v[112:113]
	v_add_f64_e64 v[122:123], v[131:132], -v[114:115]
	;; [unrolled: 1-line block ×6, first 2 shown]
	v_add_f64_e32 v[149:150], v[116:117], v[104:105]
	v_add_f64_e32 v[151:152], v[118:119], v[106:107]
	v_add_f64_e64 v[116:117], v[100:101], -v[116:117]
	v_add_f64_e64 v[118:119], v[102:103], -v[118:119]
	v_add_f64_e32 v[145:146], v[112:113], v[96:97]
	v_add_f64_e32 v[147:148], v[114:115], v[98:99]
	v_add_f64_e64 v[112:113], v[112:113], -v[133:134]
	v_add_f64_e64 v[114:115], v[114:115], -v[135:136]
	ds_load_b128 v[96:99], v126
	v_mul_f64_e32 v[120:121], s[10:11], v[120:121]
	v_mul_f64_e32 v[122:123], s[10:11], v[122:123]
	;; [unrolled: 1-line block ×6, first 2 shown]
	v_add_f64_e32 v[100:101], v[149:150], v[100:101]
	v_add_f64_e32 v[102:103], v[151:152], v[102:103]
	global_wb scope:SCOPE_SE
	s_wait_dscnt 0x0
	s_barrier_signal -1
	s_barrier_wait -1
	global_inv scope:SCOPE_SE
	v_add_f64_e32 v[104:105], v[96:97], v[145:146]
	v_add_f64_e32 v[106:107], v[98:99], v[147:148]
	v_add_f64_e64 v[96:97], v[133:134], -v[108:109]
	v_add_f64_e64 v[98:99], v[135:136], -v[131:132]
	v_mul_f64_e32 v[108:109], s[14:15], v[112:113]
	v_mul_f64_e32 v[131:132], s[14:15], v[114:115]
	v_fma_f64 v[112:113], v[112:113], s[14:15], v[120:121]
	v_fma_f64 v[114:115], v[114:115], s[14:15], v[122:123]
	;; [unrolled: 1-line block ×4, first 2 shown]
	v_fma_f64 v[137:138], v[141:142], s[2:3], -v[137:138]
	v_fma_f64 v[139:140], v[143:144], s[2:3], -v[139:140]
	v_fma_f64 v[116:117], v[116:117], s[22:23], v[153:154]
	v_fma_f64 v[118:119], v[118:119], s[22:23], v[155:156]
	;; [unrolled: 1-line block ×4, first 2 shown]
	v_fma_f64 v[120:121], v[96:97], s[20:21], -v[120:121]
	v_fma_f64 v[122:123], v[98:99], s[20:21], -v[122:123]
	v_fma_f64 v[96:97], v[96:97], s[18:19], -v[108:109]
	v_fma_f64 v[98:99], v[98:99], s[18:19], -v[131:132]
	s_wait_alu 0xfffe
	v_fma_f64 v[108:109], v[100:101], s[26:27], v[133:134]
	v_fma_f64 v[135:136], v[102:103], s[26:27], v[135:136]
	;; [unrolled: 1-line block ×6, first 2 shown]
	v_add_f64_e32 v[137:138], v[112:113], v[141:142]
	v_add_f64_e32 v[139:140], v[114:115], v[143:144]
	;; [unrolled: 1-line block ×7, first 2 shown]
	v_add_f64_e64 v[114:115], v[139:140], -v[108:109]
	v_add_f64_e32 v[116:117], v[145:146], v[102:103]
	v_add_f64_e64 v[118:119], v[147:148], -v[100:101]
	v_add_f64_e64 v[120:121], v[96:97], -v[131:132]
	v_add_f64_e32 v[122:123], v[133:134], v[98:99]
	v_add_f64_e32 v[131:132], v[96:97], v[131:132]
	v_add_f64_e64 v[133:134], v[98:99], -v[133:134]
	v_add_f64_e64 v[96:97], v[145:146], -v[102:103]
	v_add_f64_e32 v[98:99], v[100:101], v[147:148]
	v_add_f64_e64 v[100:101], v[137:138], -v[135:136]
	v_add_f64_e32 v[102:103], v[108:109], v[139:140]
	ds_store_b128 v111, v[104:107]
	ds_store_b128 v111, v[112:115] offset:16
	ds_store_b128 v111, v[116:119] offset:32
	;; [unrolled: 1-line block ×6, first 2 shown]
	global_wb scope:SCOPE_SE
	s_wait_dscnt 0x0
	s_barrier_signal -1
	s_barrier_wait -1
	global_inv scope:SCOPE_SE
	ds_load_b128 v[104:107], v126
	ds_load_b128 v[120:123], v126 offset:784
	ds_load_b128 v[108:111], v126 offset:1568
	;; [unrolled: 1-line block ×4, first 2 shown]
	s_and_saveexec_b32 s2, vcc_lo
	s_cbranch_execz .LBB0_7
; %bb.6:
	ds_load_b128 v[96:99], v126 offset:560
	ds_load_b128 v[100:103], v126 offset:1344
	;; [unrolled: 1-line block ×5, first 2 shown]
.LBB0_7:
	s_wait_alu 0xfffe
	s_or_b32 exec_lo, exec_lo, s2
	s_wait_dscnt 0x3
	v_mul_f64_e32 v[131:132], v[58:59], v[122:123]
	s_wait_dscnt 0x2
	v_mul_f64_e32 v[133:134], v[50:51], v[110:111]
	;; [unrolled: 2-line block ×3, first 2 shown]
	v_mul_f64_e32 v[58:59], v[58:59], v[120:121]
	s_wait_dscnt 0x0
	v_mul_f64_e32 v[137:138], v[54:55], v[118:119]
	v_mul_f64_e32 v[50:51], v[50:51], v[108:109]
	;; [unrolled: 1-line block ×4, first 2 shown]
	s_mov_b32 s2, 0x134454ff
	s_mov_b32 s3, 0xbfee6f0e
	;; [unrolled: 1-line block ×3, first 2 shown]
	s_wait_alu 0xfffe
	s_mov_b32 s8, s2
	s_mov_b32 s12, 0x4755a5e
	;; [unrolled: 1-line block ×4, first 2 shown]
	s_wait_alu 0xfffe
	s_mov_b32 s10, s12
	s_mov_b32 s14, 0x372fe950
	s_mov_b32 s15, 0x3fd3c6ef
	global_wb scope:SCOPE_SE
	s_barrier_signal -1
	s_barrier_wait -1
	global_inv scope:SCOPE_SE
	v_fma_f64 v[120:121], v[56:57], v[120:121], v[131:132]
	v_fma_f64 v[108:109], v[48:49], v[108:109], v[133:134]
	;; [unrolled: 1-line block ×3, first 2 shown]
	v_fma_f64 v[56:57], v[56:57], v[122:123], -v[58:59]
	v_fma_f64 v[58:59], v[52:53], v[116:117], v[137:138]
	v_fma_f64 v[48:49], v[48:49], v[110:111], -v[50:51]
	v_fma_f64 v[44:45], v[44:45], v[114:115], -v[46:47]
	;; [unrolled: 1-line block ×3, first 2 shown]
	v_add_f64_e32 v[114:115], v[104:105], v[120:121]
	v_add_f64_e32 v[50:51], v[108:109], v[112:113]
	;; [unrolled: 1-line block ×4, first 2 shown]
	v_add_f64_e64 v[131:132], v[120:121], -v[58:59]
	v_add_f64_e32 v[54:55], v[48:49], v[44:45]
	v_add_f64_e32 v[110:111], v[56:57], v[46:47]
	v_add_f64_e64 v[116:117], v[56:57], -v[46:47]
	v_add_f64_e64 v[118:119], v[48:49], -v[44:45]
	;; [unrolled: 1-line block ×8, first 2 shown]
	v_fma_f64 v[50:51], v[50:51], -0.5, v[104:105]
	v_add_f64_e32 v[48:49], v[122:123], v[48:49]
	v_fma_f64 v[52:53], v[52:53], -0.5, v[104:105]
	v_add_f64_e64 v[104:105], v[108:109], -v[112:113]
	v_fma_f64 v[54:55], v[54:55], -0.5, v[106:107]
	v_fma_f64 v[106:107], v[110:111], -0.5, v[106:107]
	v_add_f64_e64 v[110:111], v[120:121], -v[108:109]
	v_add_f64_e64 v[120:121], v[108:109], -v[120:121]
	v_add_f64_e32 v[108:109], v[114:115], v[108:109]
	v_fma_f64 v[114:115], v[116:117], s[2:3], v[50:51]
	v_fma_f64 v[50:51], v[116:117], s[8:9], v[50:51]
	;; [unrolled: 1-line block ×8, first 2 shown]
	v_add_f64_e32 v[120:121], v[120:121], v[135:136]
	v_add_f64_e32 v[135:136], v[56:57], v[141:142]
	;; [unrolled: 1-line block ×6, first 2 shown]
	v_fma_f64 v[108:109], v[118:119], s[12:13], v[114:115]
	s_wait_alu 0xfffe
	v_fma_f64 v[50:51], v[118:119], s[10:11], v[50:51]
	v_fma_f64 v[112:113], v[116:117], s[12:13], v[122:123]
	;; [unrolled: 1-line block ×7, first 2 shown]
	v_add_f64_e32 v[44:45], v[56:57], v[58:59]
	v_add_f64_e32 v[46:47], v[48:49], v[46:47]
	v_fma_f64 v[48:49], v[110:111], s[14:15], v[108:109]
	v_fma_f64 v[52:53], v[110:111], s[14:15], v[50:51]
	v_fma_f64 v[56:57], v[120:121], s[14:15], v[112:113]
	v_fma_f64 v[104:105], v[120:121], s[14:15], v[114:115]
	v_fma_f64 v[50:51], v[133:134], s[14:15], v[116:117]
	v_fma_f64 v[58:59], v[135:136], s[14:15], v[118:119]
	v_fma_f64 v[106:107], v[135:136], s[14:15], v[106:107]
	v_fma_f64 v[54:55], v[133:134], s[14:15], v[54:55]
	ds_store_b128 v130, v[44:47]
	ds_store_b128 v130, v[48:51] offset:112
	ds_store_b128 v130, v[56:59] offset:224
	;; [unrolled: 1-line block ×4, first 2 shown]
	s_and_saveexec_b32 s16, vcc_lo
	s_cbranch_execz .LBB0_9
; %bb.8:
	v_mul_f64_e32 v[44:45], v[42:43], v[84:85]
	v_mul_f64_e32 v[46:47], v[30:31], v[100:101]
	;; [unrolled: 1-line block ×8, first 2 shown]
	v_fma_f64 v[44:45], v[40:41], v[86:87], -v[44:45]
	v_fma_f64 v[46:47], v[28:29], v[102:103], -v[46:47]
	;; [unrolled: 1-line block ×4, first 2 shown]
	v_fma_f64 v[40:41], v[40:41], v[84:85], v[42:43]
	v_fma_f64 v[36:37], v[36:37], v[88:89], v[38:39]
	;; [unrolled: 1-line block ×4, first 2 shown]
	v_add_f64_e32 v[56:57], v[98:99], v[46:47]
	v_add_f64_e32 v[30:31], v[46:47], v[48:49]
	;; [unrolled: 1-line block ×3, first 2 shown]
	v_add_f64_e64 v[84:85], v[46:47], -v[48:49]
	v_add_f64_e32 v[38:39], v[40:41], v[36:37]
	v_add_f64_e32 v[58:59], v[96:97], v[28:29]
	;; [unrolled: 1-line block ×3, first 2 shown]
	v_add_f64_e64 v[52:53], v[40:41], -v[36:37]
	v_add_f64_e64 v[54:55], v[28:29], -v[32:33]
	;; [unrolled: 1-line block ×9, first 2 shown]
	v_add_f64_e32 v[44:45], v[56:57], v[44:45]
	v_fma_f64 v[30:31], v[30:31], -0.5, v[98:99]
	v_fma_f64 v[34:35], v[34:35], -0.5, v[98:99]
	v_add_f64_e64 v[98:99], v[32:33], -v[36:37]
	v_fma_f64 v[38:39], v[38:39], -0.5, v[96:97]
	v_add_f64_e32 v[40:41], v[58:59], v[40:41]
	v_fma_f64 v[42:43], v[42:43], -0.5, v[96:97]
	v_add_f64_e64 v[96:97], v[36:37], -v[32:33]
	v_add_f64_e32 v[46:47], v[46:47], v[92:93]
	v_add_f64_e32 v[88:89], v[88:89], v[90:91]
	v_fma_f64 v[56:57], v[52:53], s[8:9], v[30:31]
	v_fma_f64 v[30:31], v[52:53], s[2:3], v[30:31]
	;; [unrolled: 1-line block ×8, first 2 shown]
	v_add_f64_e32 v[92:93], v[28:29], v[98:99]
	v_add_f64_e32 v[28:29], v[44:45], v[50:51]
	;; [unrolled: 1-line block ×4, first 2 shown]
	v_fma_f64 v[40:41], v[54:55], s[12:13], v[56:57]
	v_fma_f64 v[44:45], v[54:55], s[10:11], v[30:31]
	;; [unrolled: 1-line block ×8, first 2 shown]
	v_add_f64_e32 v[30:31], v[28:29], v[48:49]
	v_add_f64_e32 v[28:29], v[36:37], v[32:33]
	v_and_b32_e32 v48, 0xffff, v128
	s_delay_alu instid0(VALU_DEP_1) | instskip(NEXT) | instid1(VALU_DEP_1)
	v_mul_u32_u24_e32 v48, 35, v48
	v_add_nc_u32_e32 v48, v48, v129
	s_delay_alu instid0(VALU_DEP_1)
	v_lshl_add_u32 v48, v48, 4, v127
	v_fma_f64 v[34:35], v[88:89], s[14:15], v[40:41]
	v_fma_f64 v[38:39], v[88:89], s[14:15], v[44:45]
	;; [unrolled: 1-line block ×8, first 2 shown]
	ds_store_b128 v48, v[28:31]
	ds_store_b128 v48, v[44:47] offset:112
	ds_store_b128 v48, v[36:39] offset:224
	;; [unrolled: 1-line block ×4, first 2 shown]
.LBB0_9:
	s_wait_alu 0xfffe
	s_or_b32 exec_lo, exec_lo, s16
	global_wb scope:SCOPE_SE
	s_wait_dscnt 0x0
	s_barrier_signal -1
	s_barrier_wait -1
	global_inv scope:SCOPE_SE
	ds_load_b128 v[28:31], v126 offset:560
	ds_load_b128 v[32:35], v126 offset:1120
	;; [unrolled: 1-line block ×6, first 2 shown]
	s_mov_b32 s2, 0x37e14327
	s_mov_b32 s3, 0x3fe948f6
	;; [unrolled: 1-line block ×10, first 2 shown]
	s_wait_dscnt 0x5
	v_mul_f64_e32 v[52:53], v[66:67], v[30:31]
	v_mul_f64_e32 v[54:55], v[66:67], v[28:29]
	s_wait_dscnt 0x4
	v_mul_f64_e32 v[56:57], v[62:63], v[34:35]
	v_mul_f64_e32 v[58:59], v[62:63], v[32:33]
	;; [unrolled: 3-line block ×6, first 2 shown]
	v_fma_f64 v[28:29], v[64:65], v[28:29], v[52:53]
	v_fma_f64 v[30:31], v[64:65], v[30:31], -v[54:55]
	v_fma_f64 v[32:33], v[60:61], v[32:33], v[56:57]
	v_fma_f64 v[34:35], v[60:61], v[34:35], -v[58:59]
	;; [unrolled: 2-line block ×6, first 2 shown]
	v_add_f64_e32 v[52:53], v[28:29], v[36:37]
	v_add_f64_e32 v[54:55], v[30:31], v[38:39]
	;; [unrolled: 1-line block ×4, first 2 shown]
	v_add_f64_e64 v[32:33], v[32:33], -v[40:41]
	v_add_f64_e64 v[34:35], v[34:35], -v[42:43]
	v_add_f64_e32 v[60:61], v[44:45], v[48:49]
	v_add_f64_e32 v[62:63], v[46:47], v[50:51]
	v_add_f64_e64 v[40:41], v[48:49], -v[44:45]
	v_add_f64_e64 v[42:43], v[50:51], -v[46:47]
	;; [unrolled: 1-line block ×4, first 2 shown]
	v_add_f64_e32 v[28:29], v[56:57], v[52:53]
	v_add_f64_e32 v[30:31], v[58:59], v[54:55]
	v_add_f64_e64 v[44:45], v[52:53], -v[60:61]
	v_add_f64_e64 v[46:47], v[54:55], -v[62:63]
	;; [unrolled: 1-line block ×10, first 2 shown]
	v_add_f64_e32 v[32:33], v[40:41], v[32:33]
	v_add_f64_e32 v[34:35], v[42:43], v[34:35]
	v_add_f64_e64 v[40:41], v[36:37], -v[40:41]
	v_add_f64_e64 v[42:43], v[38:39], -v[42:43]
	v_add_f64_e32 v[60:61], v[60:61], v[28:29]
	v_add_f64_e32 v[62:63], v[62:63], v[30:31]
	ds_load_b128 v[28:31], v126
	s_wait_alu 0xfffe
	v_mul_f64_e32 v[44:45], s[2:3], v[44:45]
	v_mul_f64_e32 v[46:47], s[2:3], v[46:47]
	s_mov_b32 s2, 0x429ad128
	v_mul_f64_e32 v[56:57], s[8:9], v[48:49]
	v_mul_f64_e32 v[58:59], s[8:9], v[50:51]
	;; [unrolled: 1-line block ×4, first 2 shown]
	s_mov_b32 s3, 0xbfebfeb5
	s_mov_b32 s10, 0xaaaaaaaa
	s_wait_alu 0xfffe
	v_mul_f64_e32 v[72:73], s[2:3], v[68:69]
	v_mul_f64_e32 v[74:75], s[2:3], v[70:71]
	s_mov_b32 s11, 0xbff2aaaa
	v_add_f64_e32 v[32:33], v[32:33], v[36:37]
	v_add_f64_e32 v[34:35], v[34:35], v[38:39]
	s_wait_dscnt 0x0
	v_add_f64_e32 v[28:29], v[28:29], v[60:61]
	v_add_f64_e32 v[30:31], v[30:31], v[62:63]
	v_fma_f64 v[36:37], v[48:49], s[8:9], v[44:45]
	v_fma_f64 v[38:39], v[50:51], s[8:9], v[46:47]
	v_fma_f64 v[48:49], v[52:53], s[12:13], -v[56:57]
	v_fma_f64 v[50:51], v[54:55], s[12:13], -v[58:59]
	s_mov_b32 s13, 0xbfe77f67
	v_fma_f64 v[56:57], v[40:41], s[14:15], v[64:65]
	v_fma_f64 v[58:59], v[42:43], s[14:15], v[66:67]
	s_mov_b32 s15, 0x3fd5d0dc
	v_fma_f64 v[64:65], v[68:69], s[2:3], -v[64:65]
	v_fma_f64 v[66:67], v[70:71], s[2:3], -v[66:67]
	s_wait_alu 0xfffe
	v_fma_f64 v[40:41], v[40:41], s[14:15], -v[72:73]
	v_fma_f64 v[42:43], v[42:43], s[14:15], -v[74:75]
	;; [unrolled: 1-line block ×4, first 2 shown]
	s_mov_b32 s2, 0x37c3f68c
	s_mov_b32 s3, 0xbfdc38aa
	v_fma_f64 v[60:61], v[60:61], s[10:11], v[28:29]
	v_fma_f64 v[62:63], v[62:63], s[10:11], v[30:31]
	s_wait_alu 0xfffe
	v_fma_f64 v[54:55], v[32:33], s[2:3], v[56:57]
	v_fma_f64 v[52:53], v[34:35], s[2:3], v[58:59]
	;; [unrolled: 1-line block ×6, first 2 shown]
	s_mov_b32 s2, 0xec259dc8
	s_mov_b32 s3, 0x3f70b7e6
	v_add_f64_e32 v[68:69], v[36:37], v[60:61]
	v_add_f64_e32 v[70:71], v[38:39], v[62:63]
	;; [unrolled: 1-line block ×7, first 2 shown]
	v_add_f64_e64 v[34:35], v[70:71], -v[54:55]
	v_add_f64_e32 v[36:37], v[66:67], v[72:73]
	v_add_f64_e64 v[38:39], v[74:75], -v[64:65]
	v_add_f64_e64 v[40:41], v[44:45], -v[58:59]
	v_add_f64_e32 v[42:43], v[56:57], v[46:47]
	v_add_f64_e32 v[44:45], v[58:59], v[44:45]
	v_add_f64_e64 v[46:47], v[46:47], -v[56:57]
	v_add_f64_e64 v[48:49], v[72:73], -v[66:67]
	v_add_f64_e32 v[50:51], v[64:65], v[74:75]
	v_add_f64_e64 v[52:53], v[68:69], -v[52:53]
	v_add_f64_e32 v[54:55], v[54:55], v[70:71]
	v_mad_co_u64_u32 v[70:71], null, s6, v124, 0
	v_mad_co_u64_u32 v[72:73], null, s4, v125, 0
	ds_store_b128 v126, v[28:31]
	ds_store_b128 v126, v[32:35] offset:560
	ds_store_b128 v126, v[36:39] offset:1120
	;; [unrolled: 1-line block ×6, first 2 shown]
	global_wb scope:SCOPE_SE
	s_wait_dscnt 0x0
	s_barrier_signal -1
	s_barrier_wait -1
	global_inv scope:SCOPE_SE
	ds_load_b128 v[28:31], v126
	ds_load_b128 v[32:35], v126 offset:560
	ds_load_b128 v[36:39], v126 offset:1120
	;; [unrolled: 1-line block ×6, first 2 shown]
	s_wait_dscnt 0x6
	v_mul_f64_e32 v[56:57], v[2:3], v[30:31]
	v_mul_f64_e32 v[2:3], v[2:3], v[28:29]
	s_wait_dscnt 0x5
	v_mul_f64_e32 v[58:59], v[6:7], v[34:35]
	v_mul_f64_e32 v[6:7], v[6:7], v[32:33]
	;; [unrolled: 3-line block ×7, first 2 shown]
	v_fma_f64 v[28:29], v[0:1], v[28:29], v[56:57]
	v_fma_f64 v[2:3], v[0:1], v[30:31], -v[2:3]
	v_fma_f64 v[30:31], v[4:5], v[32:33], v[58:59]
	v_fma_f64 v[6:7], v[4:5], v[34:35], -v[6:7]
	v_fma_f64 v[32:33], v[8:9], v[36:37], v[60:61]
	v_fma_f64 v[10:11], v[8:9], v[38:39], -v[10:11]
	v_fma_f64 v[34:35], v[12:13], v[40:41], v[62:63]
	v_fma_f64 v[14:15], v[12:13], v[42:43], -v[14:15]
	v_fma_f64 v[36:37], v[20:21], v[44:45], v[64:65]
	v_fma_f64 v[20:21], v[20:21], v[46:47], -v[22:23]
	v_fma_f64 v[22:23], v[16:17], v[48:49], v[66:67]
	v_fma_f64 v[38:39], v[16:17], v[50:51], -v[18:19]
	v_fma_f64 v[40:41], v[24:25], v[52:53], v[68:69]
	v_fma_f64 v[26:27], v[24:25], v[54:55], -v[26:27]
	v_mad_co_u64_u32 v[4:5], null, s7, v124, v[71:72]
	s_delay_alu instid0(VALU_DEP_1) | instskip(NEXT) | instid1(VALU_DEP_1)
	v_dual_mov_b32 v0, v73 :: v_dual_mov_b32 v71, v4
	v_mad_co_u64_u32 v[0:1], null, s5, v125, v[0:1]
	s_delay_alu instid0(VALU_DEP_1) | instskip(NEXT) | instid1(VALU_DEP_3)
	v_mov_b32_e32 v73, v0
	v_lshlrev_b64_e32 v[0:1], 4, v[70:71]
	s_delay_alu instid0(VALU_DEP_2) | instskip(NEXT) | instid1(VALU_DEP_2)
	v_lshlrev_b64_e32 v[42:43], 4, v[72:73]
	v_add_co_u32 v44, vcc_lo, s0, v0
	s_wait_alu 0xfffd
	s_delay_alu instid0(VALU_DEP_3)
	v_add_co_ci_u32_e32 v45, vcc_lo, s1, v1, vcc_lo
	s_wait_alu 0xfffe
	v_mul_f64_e32 v[0:1], s[2:3], v[28:29]
	v_mul_f64_e32 v[2:3], s[2:3], v[2:3]
	;; [unrolled: 1-line block ×14, first 2 shown]
	v_add_co_u32 v28, vcc_lo, v44, v42
	s_wait_alu 0xfffd
	v_add_co_ci_u32_e32 v29, vcc_lo, v45, v43, vcc_lo
	s_mul_u64 s[0:1], s[4:5], 0x230
	s_wait_alu 0xfffe
	v_add_co_u32 v30, vcc_lo, v28, s0
	s_wait_alu 0xfffd
	v_add_co_ci_u32_e32 v31, vcc_lo, s1, v29, vcc_lo
	s_delay_alu instid0(VALU_DEP_2) | instskip(SKIP_1) | instid1(VALU_DEP_2)
	v_add_co_u32 v32, vcc_lo, v30, s0
	s_wait_alu 0xfffd
	v_add_co_ci_u32_e32 v33, vcc_lo, s1, v31, vcc_lo
	s_delay_alu instid0(VALU_DEP_2) | instskip(SKIP_1) | instid1(VALU_DEP_2)
	v_add_co_u32 v34, vcc_lo, v32, s0
	s_wait_alu 0xfffd
	v_add_co_ci_u32_e32 v35, vcc_lo, s1, v33, vcc_lo
	s_delay_alu instid0(VALU_DEP_2) | instskip(SKIP_1) | instid1(VALU_DEP_2)
	v_add_co_u32 v36, vcc_lo, v34, s0
	s_wait_alu 0xfffd
	v_add_co_ci_u32_e32 v37, vcc_lo, s1, v35, vcc_lo
	s_delay_alu instid0(VALU_DEP_2) | instskip(SKIP_1) | instid1(VALU_DEP_2)
	v_add_co_u32 v38, vcc_lo, v36, s0
	s_wait_alu 0xfffd
	v_add_co_ci_u32_e32 v39, vcc_lo, s1, v37, vcc_lo
	s_delay_alu instid0(VALU_DEP_2) | instskip(SKIP_1) | instid1(VALU_DEP_2)
	v_add_co_u32 v40, vcc_lo, v38, s0
	s_wait_alu 0xfffd
	v_add_co_ci_u32_e32 v41, vcc_lo, s1, v39, vcc_lo
	s_clause 0x4
	global_store_b128 v[28:29], v[0:3], off
	global_store_b128 v[30:31], v[4:7], off
	global_store_b128 v[32:33], v[8:11], off
	global_store_b128 v[34:35], v[12:15], off
	global_store_b128 v[36:37], v[16:19], off
	global_store_b128 v[38:39], v[20:23], off
	global_store_b128 v[40:41], v[24:27], off
.LBB0_10:
	s_nop 0
	s_sendmsg sendmsg(MSG_DEALLOC_VGPRS)
	s_endpgm
	.section	.rodata,"a",@progbits
	.p2align	6, 0x0
	.amdhsa_kernel bluestein_single_fwd_len245_dim1_dp_op_CI_CI
		.amdhsa_group_segment_fixed_size 27440
		.amdhsa_private_segment_fixed_size 0
		.amdhsa_kernarg_size 104
		.amdhsa_user_sgpr_count 2
		.amdhsa_user_sgpr_dispatch_ptr 0
		.amdhsa_user_sgpr_queue_ptr 0
		.amdhsa_user_sgpr_kernarg_segment_ptr 1
		.amdhsa_user_sgpr_dispatch_id 0
		.amdhsa_user_sgpr_private_segment_size 0
		.amdhsa_wavefront_size32 1
		.amdhsa_uses_dynamic_stack 0
		.amdhsa_enable_private_segment 0
		.amdhsa_system_sgpr_workgroup_id_x 1
		.amdhsa_system_sgpr_workgroup_id_y 0
		.amdhsa_system_sgpr_workgroup_id_z 0
		.amdhsa_system_sgpr_workgroup_info 0
		.amdhsa_system_vgpr_workitem_id 0
		.amdhsa_next_free_vgpr 188
		.amdhsa_next_free_sgpr 30
		.amdhsa_reserve_vcc 1
		.amdhsa_float_round_mode_32 0
		.amdhsa_float_round_mode_16_64 0
		.amdhsa_float_denorm_mode_32 3
		.amdhsa_float_denorm_mode_16_64 3
		.amdhsa_fp16_overflow 0
		.amdhsa_workgroup_processor_mode 1
		.amdhsa_memory_ordered 1
		.amdhsa_forward_progress 0
		.amdhsa_round_robin_scheduling 0
		.amdhsa_exception_fp_ieee_invalid_op 0
		.amdhsa_exception_fp_denorm_src 0
		.amdhsa_exception_fp_ieee_div_zero 0
		.amdhsa_exception_fp_ieee_overflow 0
		.amdhsa_exception_fp_ieee_underflow 0
		.amdhsa_exception_fp_ieee_inexact 0
		.amdhsa_exception_int_div_zero 0
	.end_amdhsa_kernel
	.text
.Lfunc_end0:
	.size	bluestein_single_fwd_len245_dim1_dp_op_CI_CI, .Lfunc_end0-bluestein_single_fwd_len245_dim1_dp_op_CI_CI
                                        ; -- End function
	.section	.AMDGPU.csdata,"",@progbits
; Kernel info:
; codeLenInByte = 8736
; NumSgprs: 32
; NumVgprs: 188
; ScratchSize: 0
; MemoryBound: 0
; FloatMode: 240
; IeeeMode: 1
; LDSByteSize: 27440 bytes/workgroup (compile time only)
; SGPRBlocks: 3
; VGPRBlocks: 23
; NumSGPRsForWavesPerEU: 32
; NumVGPRsForWavesPerEU: 188
; Occupancy: 8
; WaveLimiterHint : 1
; COMPUTE_PGM_RSRC2:SCRATCH_EN: 0
; COMPUTE_PGM_RSRC2:USER_SGPR: 2
; COMPUTE_PGM_RSRC2:TRAP_HANDLER: 0
; COMPUTE_PGM_RSRC2:TGID_X_EN: 1
; COMPUTE_PGM_RSRC2:TGID_Y_EN: 0
; COMPUTE_PGM_RSRC2:TGID_Z_EN: 0
; COMPUTE_PGM_RSRC2:TIDIG_COMP_CNT: 0
	.text
	.p2alignl 7, 3214868480
	.fill 96, 4, 3214868480
	.type	__hip_cuid_63010f4c8ab73724,@object ; @__hip_cuid_63010f4c8ab73724
	.section	.bss,"aw",@nobits
	.globl	__hip_cuid_63010f4c8ab73724
__hip_cuid_63010f4c8ab73724:
	.byte	0                               ; 0x0
	.size	__hip_cuid_63010f4c8ab73724, 1

	.ident	"AMD clang version 19.0.0git (https://github.com/RadeonOpenCompute/llvm-project roc-6.4.0 25133 c7fe45cf4b819c5991fe208aaa96edf142730f1d)"
	.section	".note.GNU-stack","",@progbits
	.addrsig
	.addrsig_sym __hip_cuid_63010f4c8ab73724
	.amdgpu_metadata
---
amdhsa.kernels:
  - .args:
      - .actual_access:  read_only
        .address_space:  global
        .offset:         0
        .size:           8
        .value_kind:     global_buffer
      - .actual_access:  read_only
        .address_space:  global
        .offset:         8
        .size:           8
        .value_kind:     global_buffer
      - .actual_access:  read_only
        .address_space:  global
        .offset:         16
        .size:           8
        .value_kind:     global_buffer
      - .actual_access:  read_only
        .address_space:  global
        .offset:         24
        .size:           8
        .value_kind:     global_buffer
      - .actual_access:  read_only
        .address_space:  global
        .offset:         32
        .size:           8
        .value_kind:     global_buffer
      - .offset:         40
        .size:           8
        .value_kind:     by_value
      - .address_space:  global
        .offset:         48
        .size:           8
        .value_kind:     global_buffer
      - .address_space:  global
        .offset:         56
        .size:           8
        .value_kind:     global_buffer
      - .address_space:  global
        .offset:         64
        .size:           8
        .value_kind:     global_buffer
      - .address_space:  global
        .offset:         72
        .size:           8
        .value_kind:     global_buffer
      - .offset:         80
        .size:           4
        .value_kind:     by_value
      - .address_space:  global
        .offset:         88
        .size:           8
        .value_kind:     global_buffer
      - .address_space:  global
        .offset:         96
        .size:           8
        .value_kind:     global_buffer
    .group_segment_fixed_size: 27440
    .kernarg_segment_align: 8
    .kernarg_segment_size: 104
    .language:       OpenCL C
    .language_version:
      - 2
      - 0
    .max_flat_workgroup_size: 245
    .name:           bluestein_single_fwd_len245_dim1_dp_op_CI_CI
    .private_segment_fixed_size: 0
    .sgpr_count:     32
    .sgpr_spill_count: 0
    .symbol:         bluestein_single_fwd_len245_dim1_dp_op_CI_CI.kd
    .uniform_work_group_size: 1
    .uses_dynamic_stack: false
    .vgpr_count:     188
    .vgpr_spill_count: 0
    .wavefront_size: 32
    .workgroup_processor_mode: 1
amdhsa.target:   amdgcn-amd-amdhsa--gfx1201
amdhsa.version:
  - 1
  - 2
...

	.end_amdgpu_metadata
